;; amdgpu-corpus repo=ROCm/rocFFT kind=compiled arch=gfx1030 opt=O3
	.text
	.amdgcn_target "amdgcn-amd-amdhsa--gfx1030"
	.amdhsa_code_object_version 6
	.protected	fft_rtc_back_len1792_factors_4_4_4_4_7_wgs_224_tpt_224_halfLds_sp_op_CI_CI_sbrr_dirReg ; -- Begin function fft_rtc_back_len1792_factors_4_4_4_4_7_wgs_224_tpt_224_halfLds_sp_op_CI_CI_sbrr_dirReg
	.globl	fft_rtc_back_len1792_factors_4_4_4_4_7_wgs_224_tpt_224_halfLds_sp_op_CI_CI_sbrr_dirReg
	.p2align	8
	.type	fft_rtc_back_len1792_factors_4_4_4_4_7_wgs_224_tpt_224_halfLds_sp_op_CI_CI_sbrr_dirReg,@function
fft_rtc_back_len1792_factors_4_4_4_4_7_wgs_224_tpt_224_halfLds_sp_op_CI_CI_sbrr_dirReg: ; @fft_rtc_back_len1792_factors_4_4_4_4_7_wgs_224_tpt_224_halfLds_sp_op_CI_CI_sbrr_dirReg
; %bb.0:
	s_clause 0x2
	s_load_dwordx4 s[16:19], s[4:5], 0x18
	s_load_dwordx4 s[8:11], s[4:5], 0x0
	;; [unrolled: 1-line block ×3, first 2 shown]
	v_mul_u32_u24_e32 v1, 0x125, v0
	v_mov_b32_e32 v3, 0
	s_waitcnt lgkmcnt(0)
	s_load_dwordx2 s[20:21], s[16:17], 0x0
	s_load_dwordx2 s[2:3], s[18:19], 0x0
	v_cmp_lt_u64_e64 s0, s[10:11], 2
	v_add_nc_u32_sdwa v5, s6, v1 dst_sel:DWORD dst_unused:UNUSED_PAD src0_sel:DWORD src1_sel:WORD_1
	v_mov_b32_e32 v1, 0
	v_mov_b32_e32 v6, v3
	;; [unrolled: 1-line block ×3, first 2 shown]
	s_and_b32 vcc_lo, exec_lo, s0
	s_cbranch_vccnz .LBB0_8
; %bb.1:
	s_load_dwordx2 s[0:1], s[4:5], 0x10
	v_mov_b32_e32 v1, 0
	v_mov_b32_e32 v2, 0
	s_add_u32 s6, s18, 8
	s_addc_u32 s7, s19, 0
	s_add_u32 s22, s16, 8
	s_addc_u32 s23, s17, 0
	v_mov_b32_e32 v9, v2
	v_mov_b32_e32 v8, v1
	s_mov_b64 s[26:27], 1
	s_waitcnt lgkmcnt(0)
	s_add_u32 s24, s0, 8
	s_addc_u32 s25, s1, 0
.LBB0_2:                                ; =>This Inner Loop Header: Depth=1
	s_load_dwordx2 s[28:29], s[24:25], 0x0
                                        ; implicit-def: $vgpr10_vgpr11
	s_mov_b32 s0, exec_lo
	s_waitcnt lgkmcnt(0)
	v_or_b32_e32 v4, s29, v6
	v_cmpx_ne_u64_e32 0, v[3:4]
	s_xor_b32 s1, exec_lo, s0
	s_cbranch_execz .LBB0_4
; %bb.3:                                ;   in Loop: Header=BB0_2 Depth=1
	v_cvt_f32_u32_e32 v4, s28
	v_cvt_f32_u32_e32 v7, s29
	s_sub_u32 s0, 0, s28
	s_subb_u32 s30, 0, s29
	v_fmac_f32_e32 v4, 0x4f800000, v7
	v_rcp_f32_e32 v4, v4
	v_mul_f32_e32 v4, 0x5f7ffffc, v4
	v_mul_f32_e32 v7, 0x2f800000, v4
	v_trunc_f32_e32 v7, v7
	v_fmac_f32_e32 v4, 0xcf800000, v7
	v_cvt_u32_f32_e32 v7, v7
	v_cvt_u32_f32_e32 v4, v4
	v_mul_lo_u32 v10, s0, v7
	v_mul_hi_u32 v11, s0, v4
	v_mul_lo_u32 v12, s30, v4
	v_add_nc_u32_e32 v10, v11, v10
	v_mul_lo_u32 v11, s0, v4
	v_add_nc_u32_e32 v10, v10, v12
	v_mul_hi_u32 v12, v4, v11
	v_mul_lo_u32 v13, v4, v10
	v_mul_hi_u32 v14, v4, v10
	v_mul_hi_u32 v15, v7, v11
	v_mul_lo_u32 v11, v7, v11
	v_mul_hi_u32 v16, v7, v10
	v_mul_lo_u32 v10, v7, v10
	v_add_co_u32 v12, vcc_lo, v12, v13
	v_add_co_ci_u32_e32 v13, vcc_lo, 0, v14, vcc_lo
	v_add_co_u32 v11, vcc_lo, v12, v11
	v_add_co_ci_u32_e32 v11, vcc_lo, v13, v15, vcc_lo
	v_add_co_ci_u32_e32 v12, vcc_lo, 0, v16, vcc_lo
	v_add_co_u32 v10, vcc_lo, v11, v10
	v_add_co_ci_u32_e32 v11, vcc_lo, 0, v12, vcc_lo
	v_add_co_u32 v4, vcc_lo, v4, v10
	v_add_co_ci_u32_e32 v7, vcc_lo, v7, v11, vcc_lo
	v_mul_hi_u32 v10, s0, v4
	v_mul_lo_u32 v12, s30, v4
	v_mul_lo_u32 v11, s0, v7
	v_add_nc_u32_e32 v10, v10, v11
	v_mul_lo_u32 v11, s0, v4
	v_add_nc_u32_e32 v10, v10, v12
	v_mul_hi_u32 v12, v4, v11
	v_mul_lo_u32 v13, v4, v10
	v_mul_hi_u32 v14, v4, v10
	v_mul_hi_u32 v15, v7, v11
	v_mul_lo_u32 v11, v7, v11
	v_mul_hi_u32 v16, v7, v10
	v_mul_lo_u32 v10, v7, v10
	v_add_co_u32 v12, vcc_lo, v12, v13
	v_add_co_ci_u32_e32 v13, vcc_lo, 0, v14, vcc_lo
	v_add_co_u32 v11, vcc_lo, v12, v11
	v_add_co_ci_u32_e32 v11, vcc_lo, v13, v15, vcc_lo
	v_add_co_ci_u32_e32 v12, vcc_lo, 0, v16, vcc_lo
	v_add_co_u32 v10, vcc_lo, v11, v10
	v_add_co_ci_u32_e32 v11, vcc_lo, 0, v12, vcc_lo
	v_add_co_u32 v4, vcc_lo, v4, v10
	v_add_co_ci_u32_e32 v7, vcc_lo, v7, v11, vcc_lo
	v_mul_hi_u32 v16, v5, v4
	v_mad_u64_u32 v[12:13], null, v6, v4, 0
	v_mad_u64_u32 v[10:11], null, v5, v7, 0
	v_mad_u64_u32 v[14:15], null, v6, v7, 0
	v_add_co_u32 v4, vcc_lo, v16, v10
	v_add_co_ci_u32_e32 v7, vcc_lo, 0, v11, vcc_lo
	v_add_co_u32 v4, vcc_lo, v4, v12
	v_add_co_ci_u32_e32 v4, vcc_lo, v7, v13, vcc_lo
	v_add_co_ci_u32_e32 v7, vcc_lo, 0, v15, vcc_lo
	v_add_co_u32 v4, vcc_lo, v4, v14
	v_add_co_ci_u32_e32 v7, vcc_lo, 0, v7, vcc_lo
	v_mul_lo_u32 v12, s29, v4
	v_mad_u64_u32 v[10:11], null, s28, v4, 0
	v_mul_lo_u32 v13, s28, v7
	v_sub_co_u32 v10, vcc_lo, v5, v10
	v_add3_u32 v11, v11, v13, v12
	v_sub_nc_u32_e32 v12, v6, v11
	v_subrev_co_ci_u32_e64 v12, s0, s29, v12, vcc_lo
	v_add_co_u32 v13, s0, v4, 2
	v_add_co_ci_u32_e64 v14, s0, 0, v7, s0
	v_sub_co_u32 v15, s0, v10, s28
	v_sub_co_ci_u32_e32 v11, vcc_lo, v6, v11, vcc_lo
	v_subrev_co_ci_u32_e64 v12, s0, 0, v12, s0
	v_cmp_le_u32_e32 vcc_lo, s28, v15
	v_cmp_eq_u32_e64 s0, s29, v11
	v_cndmask_b32_e64 v15, 0, -1, vcc_lo
	v_cmp_le_u32_e32 vcc_lo, s29, v12
	v_cndmask_b32_e64 v16, 0, -1, vcc_lo
	v_cmp_le_u32_e32 vcc_lo, s28, v10
	;; [unrolled: 2-line block ×3, first 2 shown]
	v_cndmask_b32_e64 v17, 0, -1, vcc_lo
	v_cmp_eq_u32_e32 vcc_lo, s29, v12
	v_cndmask_b32_e64 v10, v17, v10, s0
	v_cndmask_b32_e32 v12, v16, v15, vcc_lo
	v_add_co_u32 v15, vcc_lo, v4, 1
	v_add_co_ci_u32_e32 v16, vcc_lo, 0, v7, vcc_lo
	v_cmp_ne_u32_e32 vcc_lo, 0, v12
	v_cndmask_b32_e32 v11, v16, v14, vcc_lo
	v_cndmask_b32_e32 v12, v15, v13, vcc_lo
	v_cmp_ne_u32_e32 vcc_lo, 0, v10
	v_cndmask_b32_e32 v11, v7, v11, vcc_lo
	v_cndmask_b32_e32 v10, v4, v12, vcc_lo
.LBB0_4:                                ;   in Loop: Header=BB0_2 Depth=1
	s_andn2_saveexec_b32 s0, s1
	s_cbranch_execz .LBB0_6
; %bb.5:                                ;   in Loop: Header=BB0_2 Depth=1
	v_cvt_f32_u32_e32 v4, s28
	s_sub_i32 s1, 0, s28
	v_rcp_iflag_f32_e32 v4, v4
	v_mul_f32_e32 v4, 0x4f7ffffe, v4
	v_cvt_u32_f32_e32 v4, v4
	v_mul_lo_u32 v7, s1, v4
	v_mul_hi_u32 v7, v4, v7
	v_add_nc_u32_e32 v4, v4, v7
	v_mul_hi_u32 v4, v5, v4
	v_mul_lo_u32 v7, v4, s28
	v_add_nc_u32_e32 v10, 1, v4
	v_sub_nc_u32_e32 v7, v5, v7
	v_subrev_nc_u32_e32 v11, s28, v7
	v_cmp_le_u32_e32 vcc_lo, s28, v7
	v_cndmask_b32_e32 v7, v7, v11, vcc_lo
	v_cndmask_b32_e32 v4, v4, v10, vcc_lo
	v_mov_b32_e32 v11, v3
	v_cmp_le_u32_e32 vcc_lo, s28, v7
	v_add_nc_u32_e32 v10, 1, v4
	v_cndmask_b32_e32 v10, v4, v10, vcc_lo
.LBB0_6:                                ;   in Loop: Header=BB0_2 Depth=1
	s_or_b32 exec_lo, exec_lo, s0
	v_mul_lo_u32 v4, v11, s28
	v_mul_lo_u32 v7, v10, s29
	s_load_dwordx2 s[0:1], s[22:23], 0x0
	v_mad_u64_u32 v[12:13], null, v10, s28, 0
	s_load_dwordx2 s[28:29], s[6:7], 0x0
	s_add_u32 s26, s26, 1
	s_addc_u32 s27, s27, 0
	s_add_u32 s6, s6, 8
	s_addc_u32 s7, s7, 0
	s_add_u32 s22, s22, 8
	v_add3_u32 v4, v13, v7, v4
	v_sub_co_u32 v5, vcc_lo, v5, v12
	s_addc_u32 s23, s23, 0
	s_add_u32 s24, s24, 8
	v_sub_co_ci_u32_e32 v4, vcc_lo, v6, v4, vcc_lo
	s_addc_u32 s25, s25, 0
	s_waitcnt lgkmcnt(0)
	v_mul_lo_u32 v6, s0, v4
	v_mul_lo_u32 v7, s1, v5
	v_mad_u64_u32 v[1:2], null, s0, v5, v[1:2]
	v_mul_lo_u32 v4, s28, v4
	v_mul_lo_u32 v12, s29, v5
	v_mad_u64_u32 v[8:9], null, s28, v5, v[8:9]
	v_cmp_ge_u64_e64 s0, s[26:27], s[10:11]
	v_add3_u32 v2, v7, v2, v6
	v_add3_u32 v9, v12, v9, v4
	s_and_b32 vcc_lo, exec_lo, s0
	s_cbranch_vccnz .LBB0_9
; %bb.7:                                ;   in Loop: Header=BB0_2 Depth=1
	v_mov_b32_e32 v5, v10
	v_mov_b32_e32 v6, v11
	s_branch .LBB0_2
.LBB0_8:
	v_mov_b32_e32 v9, v2
	v_mov_b32_e32 v11, v6
	;; [unrolled: 1-line block ×4, first 2 shown]
.LBB0_9:
	s_load_dwordx2 s[0:1], s[4:5], 0x28
	v_mul_hi_u32 v7, 0x124924a, v0
	s_lshl_b64 s[6:7], s[10:11], 3
                                        ; implicit-def: $sgpr10_sgpr11
                                        ; implicit-def: $vgpr29
                                        ; implicit-def: $vgpr30
	s_add_u32 s4, s18, s6
	s_addc_u32 s5, s19, s7
	s_waitcnt lgkmcnt(0)
	v_cmp_gt_u64_e32 vcc_lo, s[0:1], v[10:11]
	v_cmp_le_u64_e64 s0, s[0:1], v[10:11]
	s_and_saveexec_b32 s1, s0
	s_xor_b32 s0, exec_lo, s1
; %bb.10:
	v_mul_u32_u24_e32 v1, 0xe0, v7
	s_mov_b64 s[10:11], 0
                                        ; implicit-def: $vgpr7
	v_sub_nc_u32_e32 v29, v0, v1
                                        ; implicit-def: $vgpr0
                                        ; implicit-def: $vgpr1_vgpr2
	v_add_nc_u32_e32 v30, 0xe0, v29
; %bb.11:
	s_or_saveexec_b32 s1, s0
	v_mov_b32_e32 v13, s11
	v_mov_b32_e32 v19, s11
	;; [unrolled: 1-line block ×8, first 2 shown]
                                        ; implicit-def: $vgpr21
                                        ; implicit-def: $vgpr17
                                        ; implicit-def: $vgpr15
                                        ; implicit-def: $vgpr23
	s_xor_b32 exec_lo, exec_lo, s1
	s_cbranch_execz .LBB0_13
; %bb.12:
	s_add_u32 s6, s16, s6
	s_addc_u32 s7, s17, s7
	v_mul_u32_u24_e32 v3, 0xe0, v7
	s_load_dwordx2 s[6:7], s[6:7], 0x0
	v_sub_nc_u32_e32 v29, v0, v3
	v_lshlrev_b64 v[0:1], 3, v[1:2]
	v_mad_u64_u32 v[3:4], null, s20, v29, 0
	v_add_nc_u32_e32 v7, 0x1c0, v29
	v_add_nc_u32_e32 v21, 0x380, v29
	;; [unrolled: 1-line block ×5, first 2 shown]
	v_mad_u64_u32 v[5:6], null, s20, v7, 0
	v_mov_b32_e32 v2, v4
	v_mad_u64_u32 v[12:13], null, s20, v21, 0
	s_waitcnt lgkmcnt(0)
	v_mul_lo_u32 v4, s7, v10
	v_mul_lo_u32 v19, s6, v11
	v_mad_u64_u32 v[14:15], null, s6, v10, 0
	v_mad_u64_u32 v[16:17], null, s21, v29, v[2:3]
	v_mov_b32_e32 v2, v6
	v_mov_b32_e32 v6, v13
	v_mad_u64_u32 v[17:18], null, s20, v22, 0
	v_add3_u32 v15, v15, v19, v4
	v_mad_u64_u32 v[19:20], null, s21, v7, v[2:3]
	v_mov_b32_e32 v4, v16
	v_add_nc_u32_e32 v20, 0x2a0, v29
	v_lshlrev_b64 v[13:14], 3, v[14:15]
	v_mad_u64_u32 v[15:16], null, s21, v21, v[6:7]
	v_lshlrev_b64 v[3:4], 3, v[3:4]
	v_mov_b32_e32 v6, v19
	v_mov_b32_e32 v2, v18
	v_add_co_u32 v7, s0, s12, v13
	v_add_co_ci_u32_e64 v14, s0, s13, v14, s0
	v_mov_b32_e32 v13, v15
	v_add_co_u32 v31, s0, v7, v0
	v_add_co_ci_u32_e64 v32, s0, v14, v1, s0
	v_lshlrev_b64 v[0:1], 3, v[5:6]
	v_add_co_u32 v3, s0, v31, v3
	v_mad_u64_u32 v[5:6], null, s20, v30, 0
	v_add_nc_u32_e32 v27, 0x620, v29
	v_mad_u64_u32 v[14:15], null, s21, v22, v[2:3]
	v_mad_u64_u32 v[15:16], null, s20, v20, 0
	v_add_co_ci_u32_e64 v4, s0, v32, v4, s0
	v_mov_b32_e32 v2, v6
	v_lshlrev_b64 v[6:7], 3, v[12:13]
	v_mov_b32_e32 v18, v14
	v_add_co_u32 v0, s0, v31, v0
	v_mad_u64_u32 v[12:13], null, s21, v30, v[2:3]
	v_mov_b32_e32 v2, v16
	v_mad_u64_u32 v[13:14], null, s20, v24, 0
	v_lshlrev_b64 v[17:18], 3, v[17:18]
	v_add_co_ci_u32_e64 v1, s0, v32, v1, s0
	v_mad_u64_u32 v[19:20], null, s21, v20, v[2:3]
	v_mad_u64_u32 v[20:21], null, s20, v27, 0
	v_mov_b32_e32 v2, v14
	v_add_co_u32 v22, s0, v31, v6
	v_add_co_ci_u32_e64 v23, s0, v32, v7, s0
	v_mad_u64_u32 v[24:25], null, s21, v24, v[2:3]
	v_mov_b32_e32 v2, v21
	v_mov_b32_e32 v6, v12
	v_add_co_u32 v25, s0, v31, v17
	v_mov_b32_e32 v16, v19
	v_add_co_ci_u32_e64 v26, s0, v32, v18, s0
	v_mad_u64_u32 v[17:18], null, s21, v27, v[2:3]
	v_lshlrev_b64 v[5:6], 3, v[5:6]
	v_lshlrev_b64 v[15:16], 3, v[15:16]
	v_mov_b32_e32 v14, v24
	v_add_co_u32 v5, s0, v31, v5
	v_mov_b32_e32 v21, v17
	v_add_co_ci_u32_e64 v6, s0, v32, v6, s0
	v_lshlrev_b64 v[12:13], 3, v[13:14]
	v_add_co_u32 v14, s0, v31, v15
	v_add_co_ci_u32_e64 v15, s0, v32, v16, s0
	v_lshlrev_b64 v[16:17], 3, v[20:21]
	v_add_co_u32 v27, s0, v31, v12
	v_add_co_ci_u32_e64 v28, s0, v32, v13, s0
	v_add_co_u32 v31, s0, v31, v16
	v_add_co_ci_u32_e64 v32, s0, v32, v17, s0
	s_clause 0x7
	global_load_dwordx2 v[12:13], v[3:4], off
	global_load_dwordx2 v[18:19], v[0:1], off
	;; [unrolled: 1-line block ×8, first 2 shown]
.LBB0_13:
	s_or_b32 exec_lo, exec_lo, s1
	s_waitcnt vmcnt(5)
	v_sub_f32_e32 v7, v12, v20
	v_sub_f32_e32 v20, v13, v21
	s_waitcnt vmcnt(4)
	v_sub_f32_e32 v21, v18, v22
	v_sub_f32_e32 v1, v19, v23
	s_waitcnt vmcnt(0)
	v_sub_f32_e32 v24, v5, v14
	v_fma_f32 v12, v12, 2.0, -v7
	v_fma_f32 v22, v13, 2.0, -v20
	;; [unrolled: 1-line block ×4, first 2 shown]
	v_sub_f32_e32 v19, v3, v16
	v_add_f32_e32 v1, v7, v1
	v_sub_f32_e32 v23, v4, v17
	v_sub_f32_e32 v0, v12, v0
	v_fma_f32 v5, v5, 2.0, -v24
	v_sub_f32_e32 v15, v6, v15
	v_fma_f32 v14, v7, 2.0, -v1
	v_lshl_add_u32 v32, v29, 4, 0
	v_fma_f32 v13, v12, 2.0, -v0
	v_fma_f32 v12, v3, 2.0, -v19
	v_sub_f32_e32 v3, v20, v21
	v_fma_f32 v21, v4, 2.0, -v23
	v_sub_f32_e32 v2, v22, v2
	;; [unrolled: 2-line block ×3, first 2 shown]
	v_add_f32_e32 v5, v19, v15
	v_sub_f32_e32 v7, v23, v24
	ds_write2_b64 v32, v[13:14], v[0:1] offset1:1
	v_mad_i32_i24 v13, v29, -12, v32
	v_and_b32_e32 v24, 3, v29
	v_fma_f32 v18, v12, 2.0, -v4
	v_lshl_add_u32 v12, v30, 4, 0
	v_fma_f32 v16, v22, 2.0, -v2
	v_fma_f32 v17, v20, 2.0, -v3
	v_sub_f32_e32 v6, v21, v6
	v_fma_f32 v19, v19, 2.0, -v5
	v_add_nc_u32_e32 v25, 0xa80, v13
	v_mul_u32_u24_e32 v0, 3, v24
	v_add_nc_u32_e32 v27, 0x1180, v13
	v_mad_i32_i24 v31, v30, -12, v12
	s_load_dwordx2 s[4:5], s[4:5], 0x0
	v_fma_f32 v20, v21, 2.0, -v6
	v_fma_f32 v21, v23, 2.0, -v7
	ds_write2_b64 v12, v[18:19], v[4:5] offset1:1
	s_waitcnt lgkmcnt(0)
	s_barrier
	buffer_gl0_inv
	ds_read2st64_b32 v[4:5], v13 offset1:7
	ds_read2_b32 v[14:15], v25 offset1:224
	ds_read2_b32 v[18:19], v27 offset1:224
	ds_read_b32 v26, v31
	ds_read_b32 v28, v13 offset:6272
	s_waitcnt lgkmcnt(0)
	s_barrier
	buffer_gl0_inv
	ds_write2_b64 v32, v[16:17], v[2:3] offset1:1
	v_lshlrev_b32_e32 v16, 3, v0
	ds_write2_b64 v12, v[20:21], v[6:7] offset1:1
	s_waitcnt lgkmcnt(0)
	s_barrier
	buffer_gl0_inv
	s_clause 0x1
	global_load_dwordx4 v[0:3], v16, s[8:9]
	global_load_dwordx2 v[6:7], v16, s[8:9] offset:16
	ds_read2st64_b32 v[16:17], v13 offset1:7
	ds_read2_b32 v[20:21], v25 offset1:224
	ds_read2_b32 v[22:23], v27 offset1:224
	ds_read_b32 v37, v13 offset:6272
	ds_read_b32 v39, v31
	v_lshlrev_b32_e32 v33, 2, v29
	v_and_b32_e32 v35, 15, v29
	v_lshlrev_b32_e32 v34, 2, v30
	s_waitcnt vmcnt(0) lgkmcnt(0)
	s_barrier
	v_and_or_b32 v36, 0x3f0, v33, v24
	v_mul_u32_u24_e32 v38, 3, v35
	v_and_or_b32 v24, 0x7f0, v34, v24
	buffer_gl0_inv
	v_cmp_gt_u32_e64 s0, 32, v29
	v_lshl_add_u32 v36, v36, 2, 0
	v_lshlrev_b32_e32 v38, 3, v38
	v_lshl_add_u32 v24, v24, 2, 0
	v_mul_f32_e32 v40, v17, v1
	v_mul_f32_e32 v41, v5, v1
	;; [unrolled: 1-line block ×12, first 2 shown]
	v_fmac_f32_e32 v40, v5, v0
	v_fma_f32 v5, v17, v0, -v41
	v_fmac_f32_e32 v42, v15, v2
	v_fma_f32 v15, v21, v2, -v43
	v_fma_f32 v17, v23, v6, -v45
	v_fmac_f32_e32 v44, v19, v6
	v_fmac_f32_e32 v46, v14, v0
	v_fma_f32 v0, v20, v0, -v1
	v_fmac_f32_e32 v47, v18, v2
	v_fma_f32 v1, v22, v2, -v3
	;; [unrolled: 2-line block ×3, first 2 shown]
	v_sub_f32_e32 v6, v16, v15
	v_sub_f32_e32 v14, v5, v17
	;; [unrolled: 1-line block ×8, first 2 shown]
	v_fma_f32 v16, v16, 2.0, -v6
	v_fma_f32 v5, v5, 2.0, -v14
	;; [unrolled: 1-line block ×4, first 2 shown]
	v_sub_f32_e32 v19, v6, v7
	v_fma_f32 v7, v26, 2.0, -v15
	v_fma_f32 v20, v39, 2.0, -v1
	;; [unrolled: 1-line block ×4, first 2 shown]
	v_sub_f32_e32 v22, v16, v5
	v_add_f32_e32 v14, v3, v14
	v_sub_f32_e32 v18, v4, v18
	v_add_f32_e32 v2, v15, v2
	v_sub_f32_e32 v17, v1, v17
	v_sub_f32_e32 v5, v7, v21
	;; [unrolled: 1-line block ×3, first 2 shown]
	v_fma_f32 v23, v6, 2.0, -v19
	v_fma_f32 v16, v16, 2.0, -v22
	;; [unrolled: 1-line block ×8, first 2 shown]
	ds_write2_b32 v36, v18, v14 offset0:8 offset1:12
	ds_write2_b32 v36, v4, v3 offset1:4
	ds_write2_b32 v24, v7, v6 offset1:4
	ds_write2_b32 v24, v5, v2 offset0:8 offset1:12
	s_waitcnt lgkmcnt(0)
	s_barrier
	buffer_gl0_inv
	ds_read2st64_b32 v[4:5], v13 offset1:7
	ds_read2_b32 v[6:7], v25 offset1:224
	ds_read2_b32 v[14:15], v27 offset1:224
	ds_read_b32 v26, v31
	ds_read_b32 v28, v13 offset:6272
	s_waitcnt lgkmcnt(0)
	s_barrier
	buffer_gl0_inv
	ds_write2_b32 v36, v16, v23 offset1:4
	ds_write2_b32 v36, v22, v19 offset0:8 offset1:12
	ds_write2_b32 v24, v20, v1 offset1:4
	ds_write2_b32 v24, v0, v17 offset0:8 offset1:12
	s_waitcnt lgkmcnt(0)
	s_barrier
	buffer_gl0_inv
	s_clause 0x1
	global_load_dwordx4 v[0:3], v38, s[8:9] offset:96
	global_load_dwordx2 v[16:17], v38, s[8:9] offset:112
	ds_read2st64_b32 v[18:19], v13 offset1:7
	ds_read2_b32 v[20:21], v25 offset1:224
	ds_read2_b32 v[22:23], v27 offset1:224
	ds_read_b32 v39, v13 offset:6272
	ds_read_b32 v41, v31
	v_and_b32_e32 v37, 63, v29
	v_and_b32_e32 v38, 63, v30
	v_and_or_b32 v24, 0x3c0, v33, v35
	v_and_or_b32 v35, 0x7c0, v34, v35
	s_waitcnt vmcnt(0) lgkmcnt(0)
	v_mul_u32_u24_e32 v36, 3, v37
	v_mul_u32_u24_e32 v40, 3, v38
	v_lshl_add_u32 v24, v24, 2, 0
	v_lshl_add_u32 v35, v35, 2, 0
	s_barrier
	v_lshlrev_b32_e32 v36, 3, v36
	v_lshlrev_b32_e32 v40, 3, v40
	buffer_gl0_inv
	v_and_or_b32 v33, 0x300, v33, v37
	v_mul_f32_e32 v42, v19, v1
	v_mul_f32_e32 v43, v5, v1
	;; [unrolled: 1-line block ×12, first 2 shown]
	v_fmac_f32_e32 v42, v5, v0
	v_fma_f32 v5, v19, v0, -v43
	v_fmac_f32_e32 v44, v7, v2
	v_fma_f32 v7, v21, v2, -v45
	v_fmac_f32_e32 v46, v15, v16
	v_fma_f32 v15, v23, v16, -v47
	v_fmac_f32_e32 v48, v6, v0
	v_fma_f32 v0, v20, v0, -v1
	v_fmac_f32_e32 v49, v14, v2
	v_fma_f32 v1, v22, v2, -v3
	v_fmac_f32_e32 v50, v28, v16
	v_fma_f32 v2, v39, v16, -v17
	v_sub_f32_e32 v6, v18, v7
	v_sub_f32_e32 v14, v5, v15
	;; [unrolled: 1-line block ×8, first 2 shown]
	v_fma_f32 v17, v18, 2.0, -v6
	v_fma_f32 v5, v5, 2.0, -v14
	;; [unrolled: 1-line block ×8, first 2 shown]
	v_sub_f32_e32 v7, v6, v7
	v_sub_f32_e32 v5, v17, v5
	v_add_f32_e32 v14, v3, v14
	v_sub_f32_e32 v23, v1, v16
	v_sub_f32_e32 v16, v4, v18
	v_add_f32_e32 v2, v15, v2
	v_sub_f32_e32 v18, v19, v21
	v_sub_f32_e32 v0, v20, v0
	v_fma_f32 v6, v6, 2.0, -v7
	v_fma_f32 v26, v17, 2.0, -v5
	;; [unrolled: 1-line block ×8, first 2 shown]
	ds_write2_b32 v24, v16, v14 offset0:32 offset1:48
	ds_write2_b32 v24, v4, v3 offset1:16
	ds_write2_b32 v35, v19, v15 offset1:16
	ds_write2_b32 v35, v18, v2 offset0:32 offset1:48
	s_waitcnt lgkmcnt(0)
	s_barrier
	buffer_gl0_inv
	ds_read2st64_b32 v[16:17], v13 offset1:7
	ds_read2_b32 v[21:22], v25 offset1:224
	ds_read2_b32 v[14:15], v27 offset1:224
	ds_read_b32 v41, v31
	ds_read_b32 v39, v13 offset:6272
	s_waitcnt lgkmcnt(0)
	s_barrier
	buffer_gl0_inv
	ds_write2_b32 v24, v26, v6 offset1:16
	ds_write2_b32 v24, v5, v7 offset0:32 offset1:48
	ds_write2_b32 v35, v20, v1 offset1:16
	ds_write2_b32 v35, v0, v23 offset0:32 offset1:48
	s_waitcnt lgkmcnt(0)
	s_barrier
	buffer_gl0_inv
	s_clause 0x3
	global_load_dwordx4 v[0:3], v36, s[8:9] offset:480
	global_load_dwordx2 v[18:19], v36, s[8:9] offset:496
	global_load_dwordx4 v[4:7], v40, s[8:9] offset:480
	global_load_dwordx2 v[35:36], v40, s[8:9] offset:496
	ds_read2st64_b32 v[23:24], v13 offset1:7
	ds_read2_b32 v[25:26], v25 offset1:224
	ds_read2_b32 v[27:28], v27 offset1:224
	ds_read_b32 v20, v13 offset:6272
	v_and_or_b32 v42, 0x700, v34, v38
	v_lshl_add_u32 v34, v33, 2, 0
	ds_read_b32 v31, v31
	s_waitcnt vmcnt(0) lgkmcnt(0)
	s_barrier
	buffer_gl0_inv
	v_mul_f32_e32 v33, v24, v1
	v_mul_f32_e32 v37, v26, v3
	;; [unrolled: 1-line block ×10, first 2 shown]
	v_fmac_f32_e32 v33, v17, v0
	v_fmac_f32_e32 v37, v22, v2
	;; [unrolled: 1-line block ×3, first 2 shown]
	v_fma_f32 v24, v24, v0, -v1
	v_fma_f32 v0, v28, v18, -v19
	v_fmac_f32_e32 v43, v21, v4
	v_fmac_f32_e32 v44, v14, v6
	v_fmac_f32_e32 v45, v39, v35
	v_fma_f32 v38, v25, v4, -v5
	v_fma_f32 v1, v20, v35, -v36
	v_sub_f32_e32 v4, v16, v37
	v_sub_f32_e32 v25, v33, v40
	;; [unrolled: 1-line block ×6, first 2 shown]
	v_fma_f32 v1, v16, 2.0, -v4
	v_fma_f32 v5, v33, 2.0, -v25
	;; [unrolled: 1-line block ×4, first 2 shown]
	v_add_f32_e32 v18, v4, v39
	v_add_f32_e32 v28, v0, v40
	v_sub_f32_e32 v5, v1, v5
	v_lshl_add_u32 v15, v42, 2, 0
	v_sub_f32_e32 v17, v16, v17
	v_fma_f32 v4, v4, 2.0, -v18
	v_fma_f32 v0, v0, 2.0, -v28
	v_fma_f32 v1, v1, 2.0, -v5
	v_mul_i32_i24_e32 v41, -12, v29
	v_fma_f32 v16, v16, 2.0, -v17
	ds_write2st64_b32 v34, v5, v18 offset0:2 offset1:3
	ds_write2st64_b32 v34, v1, v4 offset1:1
	ds_write2st64_b32 v15, v16, v0 offset1:1
	ds_write2st64_b32 v15, v17, v28 offset0:2 offset1:3
	s_waitcnt lgkmcnt(0)
	s_barrier
	buffer_gl0_inv
	ds_read2st64_b32 v[16:17], v13 offset1:4
	ds_read2st64_b32 v[20:21], v13 offset0:8 offset1:12
	ds_read2st64_b32 v[18:19], v13 offset0:16 offset1:20
	ds_read_b32 v33, v13 offset:6144
	v_mul_i32_i24_e32 v0, -12, v30
	v_lshl_add_u32 v36, v29, 2, 0
                                        ; implicit-def: $vgpr4
                                        ; implicit-def: $vgpr13
                                        ; implicit-def: $vgpr1
	v_add_nc_u32_e32 v35, v12, v0
	s_and_saveexec_b32 s1, s0
	s_cbranch_execz .LBB0_15
; %bb.14:
	v_add_nc_u32_e32 v0, 0x80, v36
	ds_read_b32 v28, v35
	ds_read2st64_b32 v[4:5], v0 offset0:7 offset1:11
	ds_read2st64_b32 v[12:13], v0 offset0:15 offset1:19
	;; [unrolled: 1-line block ×3, first 2 shown]
.LBB0_15:
	s_or_b32 exec_lo, exec_lo, s1
	v_mul_f32_e32 v3, v22, v3
	v_mul_f32_e32 v7, v14, v7
	v_add_nc_u32_e32 v32, v32, v41
	s_waitcnt lgkmcnt(0)
	s_barrier
	v_fma_f32 v2, v26, v2, -v3
	v_fma_f32 v3, v27, v6, -v7
	v_fma_f32 v6, v24, 2.0, -v39
	v_fma_f32 v7, v38, 2.0, -v40
	buffer_gl0_inv
	v_sub_f32_e32 v2, v23, v2
	v_sub_f32_e32 v3, v31, v3
	v_fma_f32 v14, v23, 2.0, -v2
	v_fma_f32 v22, v31, 2.0, -v3
	v_sub_f32_e32 v23, v2, v25
	v_sub_f32_e32 v31, v3, v37
	;; [unrolled: 1-line block ×4, first 2 shown]
	v_fma_f32 v2, v2, 2.0, -v23
	v_fma_f32 v3, v3, 2.0, -v31
	;; [unrolled: 1-line block ×4, first 2 shown]
	ds_write2st64_b32 v34, v6, v23 offset0:2 offset1:3
	ds_write2st64_b32 v34, v14, v2 offset1:1
	ds_write2st64_b32 v15, v22, v3 offset1:1
	ds_write2st64_b32 v15, v7, v31 offset0:2 offset1:3
	s_waitcnt lgkmcnt(0)
	s_barrier
	buffer_gl0_inv
	ds_read2st64_b32 v[22:23], v32 offset1:4
	ds_read2st64_b32 v[26:27], v32 offset0:8 offset1:12
	ds_read2st64_b32 v[24:25], v32 offset0:16 offset1:20
	ds_read_b32 v32, v32 offset:6144
                                        ; implicit-def: $vgpr7
                                        ; implicit-def: $vgpr15
                                        ; implicit-def: $vgpr3
	s_and_saveexec_b32 s1, s0
	s_cbranch_execz .LBB0_17
; %bb.16:
	v_add_nc_u32_e32 v2, 0x80, v36
	ds_read_b32 v31, v35
	ds_read2st64_b32 v[6:7], v2 offset0:7 offset1:11
	ds_read2st64_b32 v[14:15], v2 offset0:15 offset1:19
	;; [unrolled: 1-line block ×3, first 2 shown]
.LBB0_17:
	s_or_b32 exec_lo, exec_lo, s1
	s_and_saveexec_b32 s0, vcc_lo
	s_cbranch_execz .LBB0_20
; %bb.18:
	v_mul_u32_u24_e32 v34, 6, v29
	v_and_b32_e32 v60, 0xff, v29
	v_mul_lo_u32 v48, s5, v10
	v_mul_lo_u32 v49, s4, v11
	v_mad_u64_u32 v[10:11], null, s4, v10, 0
	v_lshlrev_b32_e32 v42, 3, v34
	v_or_b32_e32 v62, 0x100, v60
	v_or_b32_e32 v63, 0x200, v60
	;; [unrolled: 1-line block ×3, first 2 shown]
	s_clause 0x1
	global_load_dwordx4 v[34:37], v42, s[8:9] offset:2016
	global_load_dwordx4 v[38:41], v42, s[8:9] offset:2032
	v_add_co_u32 v42, s0, s8, v42
	v_add_co_ci_u32_e64 v43, null, s9, 0, s0
	v_or_b32_e32 v65, 0x400, v60
	v_add_co_u32 v42, vcc_lo, 0x7e0, v42
	v_add_co_ci_u32_e32 v43, vcc_lo, 0, v43, vcc_lo
	v_mad_u64_u32 v[46:47], null, s2, v60, 0
	v_or_b32_e32 v66, 0x500, v60
	global_load_dwordx4 v[42:45], v[42:43], off offset:32
	v_add3_u32 v11, v11, v49, v48
	v_mad_u64_u32 v[48:49], null, s2, v62, 0
	v_mad_u64_u32 v[50:51], null, s2, v63, 0
	;; [unrolled: 1-line block ×3, first 2 shown]
	v_or_b32_e32 v67, 0x600, v60
	v_mad_u64_u32 v[54:55], null, s2, v65, 0
	v_mad_u64_u32 v[56:57], null, s2, v66, 0
	v_lshlrev_b64 v[10:11], 3, v[10:11]
	v_mad_u64_u32 v[60:61], null, s3, v60, v[47:48]
	v_mad_u64_u32 v[61:62], null, s3, v62, v[49:50]
	;; [unrolled: 1-line block ×4, first 2 shown]
	v_add_co_u32 v68, vcc_lo, s14, v10
	v_add_co_ci_u32_e32 v69, vcc_lo, s15, v11, vcc_lo
	v_mov_b32_e32 v10, v55
	v_mov_b32_e32 v11, v57
	v_mad_u64_u32 v[63:64], null, s3, v64, v[53:54]
	v_mov_b32_e32 v49, v61
	v_mov_b32_e32 v51, v62
	v_mad_u64_u32 v[64:65], null, s3, v65, v[10:11]
	v_mov_b32_e32 v10, v59
	v_mad_u64_u32 v[65:66], null, s3, v66, v[11:12]
	v_mov_b32_e32 v47, v60
	v_lshlrev_b64 v[8:9], 3, v[8:9]
	v_mad_u64_u32 v[66:67], null, s3, v67, v[10:11]
	v_lshlrev_b64 v[48:49], 3, v[48:49]
	v_lshlrev_b64 v[46:47], 3, v[46:47]
	v_mov_b32_e32 v53, v63
	v_add_co_u32 v8, s0, v68, v8
	v_add_co_ci_u32_e64 v9, s0, v69, v9, s0
	v_lshlrev_b64 v[50:51], 3, v[50:51]
	v_add_co_u32 v46, s0, v8, v46
	v_mov_b32_e32 v55, v64
	v_add_co_ci_u32_e64 v47, s0, v9, v47, s0
	v_lshlrev_b64 v[52:53], 3, v[52:53]
	v_add_co_u32 v48, s0, v8, v48
	v_mov_b32_e32 v57, v65
	;; [unrolled: 4-line block ×3, first 2 shown]
	v_add_co_ci_u32_e64 v51, s0, v9, v51, s0
	v_lshlrev_b64 v[56:57], 3, v[56:57]
	v_add_co_u32 v52, s0, v8, v52
	v_add_nc_u32_e32 v10, 0xe0, v29
	v_add_co_ci_u32_e64 v53, s0, v9, v53, s0
	v_lshlrev_b64 v[58:59], 3, v[58:59]
	v_add_co_u32 v54, s0, v8, v54
	v_add_co_ci_u32_e64 v55, s0, v9, v55, s0
	v_cmp_gt_u32_e32 vcc_lo, 0x100, v10
	v_add_co_u32 v56, s0, v8, v56
	v_add_co_ci_u32_e64 v57, s0, v9, v57, s0
	v_add_co_u32 v58, s0, v8, v58
	v_add_co_ci_u32_e64 v59, s0, v9, v59, s0
	s_waitcnt vmcnt(2)
	v_mul_f32_e32 v62, v20, v36
	s_waitcnt vmcnt(1)
	v_mul_f32_e32 v61, v21, v38
	v_mul_f32_e32 v21, v21, v39
	v_mul_f32_e32 v20, v20, v37
	v_mul_f32_e32 v11, v17, v34
	v_mul_f32_e32 v60, v18, v40
	v_mul_f32_e32 v17, v17, v35
	v_mul_f32_e32 v18, v18, v41
	s_waitcnt lgkmcnt(2)
	v_fmac_f32_e32 v61, v27, v39
	v_fma_f32 v21, v27, v38, -v21
	v_fmac_f32_e32 v62, v26, v37
	v_fma_f32 v20, v26, v36, -v20
	v_fmac_f32_e32 v11, v23, v35
	s_waitcnt lgkmcnt(1)
	v_fma_f32 v18, v24, v40, -v18
	s_waitcnt vmcnt(0)
	v_mul_f32_e32 v26, v33, v44
	v_mul_f32_e32 v27, v19, v42
	;; [unrolled: 1-line block ×4, first 2 shown]
	v_fma_f32 v17, v23, v34, -v17
	s_waitcnt lgkmcnt(0)
	v_fmac_f32_e32 v26, v32, v45
	v_fmac_f32_e32 v27, v25, v43
	v_fma_f32 v32, v32, v44, -v33
	v_fma_f32 v19, v25, v42, -v19
	v_fmac_f32_e32 v60, v24, v41
	v_add_f32_e32 v24, v18, v21
	v_sub_f32_e32 v18, v18, v21
	v_sub_f32_e32 v21, v11, v26
	v_add_f32_e32 v33, v17, v32
	v_add_f32_e32 v35, v20, v19
	;; [unrolled: 1-line block ×4, first 2 shown]
	v_sub_f32_e32 v23, v60, v61
	v_add_f32_e32 v34, v60, v61
	v_sub_f32_e32 v25, v62, v27
	v_sub_f32_e32 v17, v17, v32
	;; [unrolled: 1-line block ×3, first 2 shown]
	v_add_f32_e32 v37, v33, v35
	v_add_f32_e32 v40, v11, v26
	v_sub_f32_e32 v20, v21, v23
	v_sub_f32_e32 v27, v23, v25
	v_add_f32_e32 v23, v23, v25
	v_sub_f32_e32 v32, v33, v24
	v_sub_f32_e32 v36, v24, v35
	;; [unrolled: 1-line block ×6, first 2 shown]
	v_add_f32_e32 v18, v18, v19
	v_sub_f32_e32 v25, v25, v21
	v_sub_f32_e32 v19, v19, v17
	v_add_f32_e32 v24, v24, v37
	v_add_f32_e32 v34, v34, v40
	v_sub_f32_e32 v33, v35, v33
	v_sub_f32_e32 v11, v26, v11
	v_mul_f32_e32 v26, 0x3f08b237, v27
	v_add_f32_e32 v21, v21, v23
	v_mul_f32_e32 v23, 0x3f4a47b2, v32
	v_mul_f32_e32 v27, 0x3d64c772, v36
	;; [unrolled: 1-line block ×4, first 2 shown]
	v_add_f32_e32 v18, v17, v18
	v_mul_f32_e32 v39, 0xbf5ff5aa, v25
	v_mul_f32_e32 v40, 0xbf5ff5aa, v19
	v_add_f32_e32 v17, v22, v24
	v_add_f32_e32 v16, v16, v34
	v_mul_f32_e32 v35, 0x3f4a47b2, v38
	v_fmamk_f32 v42, v20, 0xbeae86e6, v26
	v_fmamk_f32 v32, v32, 0x3f4a47b2, v27
	;; [unrolled: 1-line block ×4, first 2 shown]
	v_fma_f32 v20, 0x3eae86e6, v20, -v39
	v_fma_f32 v23, 0xbf3bfb3b, v33, -v23
	;; [unrolled: 1-line block ×6, first 2 shown]
	v_fmamk_f32 v19, v24, 0xbf955555, v17
	v_fmamk_f32 v24, v34, 0xbf955555, v16
	v_fma_f32 v35, 0xbf3bfb3b, v11, -v35
	v_fma_f32 v11, 0x3f3bfb3b, v11, -v36
	v_fmac_f32_e32 v42, 0xbee1c552, v21
	v_fmac_f32_e32 v38, 0xbee1c552, v18
	;; [unrolled: 1-line block ×6, first 2 shown]
	v_add_f32_e32 v18, v32, v19
	v_add_f32_e32 v22, v22, v24
	;; [unrolled: 1-line block ×6, first 2 shown]
	v_sub_f32_e32 v27, v18, v42
	v_add_f32_e32 v19, v20, v26
	v_sub_f32_e32 v21, v23, v25
	v_add_f32_e32 v23, v25, v23
	;; [unrolled: 2-line block ×3, first 2 shown]
	v_add_f32_e32 v24, v39, v32
	global_store_dwordx2 v[46:47], v[16:17], off
	v_sub_f32_e32 v16, v22, v38
	v_sub_f32_e32 v22, v11, v33
	v_add_f32_e32 v20, v33, v11
	v_add_f32_e32 v17, v42, v18
	v_sub_f32_e32 v18, v32, v39
	global_store_dwordx2 v[48:49], v[26:27], off
	global_store_dwordx2 v[50:51], v[24:25], off
	;; [unrolled: 1-line block ×6, first 2 shown]
	s_and_b32 exec_lo, exec_lo, vcc_lo
	s_cbranch_execz .LBB0_20
; %bb.19:
	v_mov_b32_e32 v11, 6
	v_mad_u64_u32 v[32:33], null, s2, v10, 0
	v_add_nc_u32_e32 v44, 0x1e0, v29
	v_add_nc_u32_e32 v45, 0x2e0, v29
	v_mul_u32_u24_sdwa v11, v30, v11 dst_sel:DWORD dst_unused:UNUSED_PAD src0_sel:BYTE_0 src1_sel:DWORD
	v_add_nc_u32_e32 v46, 0x3e0, v29
	v_add_nc_u32_e32 v47, 0x4e0, v29
	;; [unrolled: 1-line block ×4, first 2 shown]
	v_lshlrev_b32_e32 v11, 3, v11
	v_mad_u64_u32 v[29:30], null, s2, v44, 0
	v_mad_u64_u32 v[34:35], null, s2, v45, 0
	s_clause 0x1
	global_load_dwordx4 v[16:19], v11, s[8:9] offset:2016
	global_load_dwordx4 v[20:23], v11, s[8:9] offset:2032
	v_add_co_u32 v11, s0, s8, v11
	v_add_co_ci_u32_e64 v25, null, s9, 0, s0
	v_mad_u64_u32 v[36:37], null, s2, v46, 0
	v_add_co_u32 v24, vcc_lo, 0x7e0, v11
	v_add_co_ci_u32_e32 v25, vcc_lo, 0, v25, vcc_lo
	v_mov_b32_e32 v11, v33
	v_mad_u64_u32 v[38:39], null, s2, v47, 0
	global_load_dwordx4 v[24:27], v[24:25], off offset:32
	v_mad_u64_u32 v[40:41], null, s2, v48, 0
	v_mad_u64_u32 v[42:43], null, s2, v49, 0
	;; [unrolled: 1-line block ×3, first 2 shown]
	v_mov_b32_e32 v11, v30
	v_mov_b32_e32 v30, v35
	v_mov_b32_e32 v33, v37
	v_mov_b32_e32 v35, v39
	v_mov_b32_e32 v37, v41
	v_mov_b32_e32 v39, v43
	v_mad_u64_u32 v[43:44], null, s3, v44, v[11:12]
	v_mad_u64_u32 v[44:45], null, s3, v45, v[30:31]
	;; [unrolled: 1-line block ×3, first 2 shown]
	v_mov_b32_e32 v33, v10
	v_mad_u64_u32 v[10:11], null, s3, v48, v[37:38]
	v_mov_b32_e32 v30, v43
	v_mad_u64_u32 v[46:47], null, s3, v47, v[35:36]
	v_lshlrev_b64 v[32:33], 3, v[32:33]
	v_mov_b32_e32 v35, v44
	v_mov_b32_e32 v37, v45
	v_mov_b32_e32 v41, v10
	v_lshlrev_b64 v[10:11], 3, v[29:30]
	v_mad_u64_u32 v[47:48], null, s3, v49, v[39:40]
	v_lshlrev_b64 v[29:30], 3, v[34:35]
	v_add_co_u32 v32, vcc_lo, v8, v32
	v_mov_b32_e32 v39, v46
	v_add_co_ci_u32_e32 v33, vcc_lo, v9, v33, vcc_lo
	v_lshlrev_b64 v[34:35], 3, v[36:37]
	v_add_co_u32 v10, vcc_lo, v8, v10
	v_add_co_ci_u32_e32 v11, vcc_lo, v9, v11, vcc_lo
	v_lshlrev_b64 v[36:37], 3, v[38:39]
	v_add_co_u32 v29, vcc_lo, v8, v29
	v_mov_b32_e32 v43, v47
	v_add_co_ci_u32_e32 v30, vcc_lo, v9, v30, vcc_lo
	v_lshlrev_b64 v[38:39], 3, v[40:41]
	v_add_co_u32 v34, vcc_lo, v8, v34
	v_add_co_ci_u32_e32 v35, vcc_lo, v9, v35, vcc_lo
	v_lshlrev_b64 v[40:41], 3, v[42:43]
	v_add_co_u32 v36, vcc_lo, v8, v36
	v_add_co_ci_u32_e32 v37, vcc_lo, v9, v37, vcc_lo
	v_add_co_u32 v38, vcc_lo, v8, v38
	v_add_co_ci_u32_e32 v39, vcc_lo, v9, v39, vcc_lo
	;; [unrolled: 2-line block ×3, first 2 shown]
	s_waitcnt vmcnt(2)
	v_mul_f32_e32 v40, v6, v17
	v_mul_f32_e32 v17, v4, v17
	;; [unrolled: 1-line block ×4, first 2 shown]
	s_waitcnt vmcnt(1)
	v_mul_f32_e32 v42, v14, v21
	v_mul_f32_e32 v21, v12, v21
	;; [unrolled: 1-line block ×4, first 2 shown]
	v_fmac_f32_e32 v40, v4, v16
	v_fma_f32 v4, v6, v16, -v17
	v_fmac_f32_e32 v41, v5, v18
	v_fma_f32 v5, v7, v18, -v19
	;; [unrolled: 2-line block ×4, first 2 shown]
	s_waitcnt vmcnt(0)
	v_mul_f32_e32 v12, v2, v25
	v_mul_f32_e32 v13, v0, v25
	v_mul_f32_e32 v14, v3, v27
	v_mul_f32_e32 v15, v1, v27
	v_add_f32_e32 v17, v6, v7
	v_fmac_f32_e32 v12, v0, v24
	v_fma_f32 v0, v2, v24, -v13
	v_fmac_f32_e32 v14, v1, v26
	v_fma_f32 v1, v3, v26, -v15
	v_sub_f32_e32 v3, v7, v6
	v_add_f32_e32 v13, v41, v12
	v_add_f32_e32 v16, v42, v43
	;; [unrolled: 1-line block ×4, first 2 shown]
	v_sub_f32_e32 v7, v40, v14
	v_add_f32_e32 v14, v5, v0
	v_sub_f32_e32 v18, v43, v42
	v_sub_f32_e32 v1, v4, v1
	;; [unrolled: 1-line block ×4, first 2 shown]
	v_add_f32_e32 v5, v13, v2
	v_add_f32_e32 v12, v14, v6
	v_sub_f32_e32 v15, v13, v2
	v_sub_f32_e32 v19, v14, v6
	;; [unrolled: 1-line block ×6, first 2 shown]
	v_add_f32_e32 v20, v18, v4
	v_add_f32_e32 v21, v3, v0
	v_sub_f32_e32 v22, v18, v4
	v_sub_f32_e32 v23, v3, v0
	;; [unrolled: 1-line block ×4, first 2 shown]
	v_add_f32_e32 v5, v16, v5
	v_add_f32_e32 v12, v17, v12
	v_sub_f32_e32 v18, v7, v18
	v_sub_f32_e32 v3, v1, v3
	v_add_f32_e32 v7, v20, v7
	v_add_f32_e32 v16, v21, v1
	v_mul_f32_e32 v2, 0x3f4a47b2, v2
	v_mul_f32_e32 v6, 0x3f4a47b2, v6
	;; [unrolled: 1-line block ×8, first 2 shown]
	v_add_f32_e32 v0, v28, v5
	v_add_f32_e32 v1, v31, v12
	v_fmamk_f32 v13, v13, 0x3d64c772, v2
	v_fmamk_f32 v14, v14, 0x3d64c772, v6
	v_fma_f32 v17, 0x3f3bfb3b, v15, -v17
	v_fma_f32 v20, 0x3f3bfb3b, v19, -v20
	;; [unrolled: 1-line block ×4, first 2 shown]
	v_fmamk_f32 v15, v18, 0xbeae86e6, v21
	v_fmamk_f32 v19, v3, 0xbeae86e6, v22
	v_fma_f32 v21, 0xbf5ff5aa, v4, -v21
	v_fma_f32 v22, 0xbf5ff5aa, v24, -v22
	;; [unrolled: 1-line block ×4, first 2 shown]
	v_fmamk_f32 v3, v5, 0xbf955555, v0
	v_fmamk_f32 v4, v12, 0xbf955555, v1
	v_fmac_f32_e32 v15, 0xbee1c552, v7
	v_fmac_f32_e32 v19, 0xbee1c552, v16
	;; [unrolled: 1-line block ×4, first 2 shown]
	v_add_f32_e32 v16, v13, v3
	v_add_f32_e32 v24, v14, v4
	v_fmac_f32_e32 v18, 0xbee1c552, v7
	v_add_f32_e32 v12, v2, v3
	v_add_f32_e32 v13, v6, v4
	v_fmac_f32_e32 v21, 0xbee1c552, v7
	v_add_f32_e32 v7, v17, v3
	v_add_f32_e32 v14, v20, v4
	global_store_dwordx2 v[32:33], v[0:1], off
	v_add_f32_e32 v0, v19, v16
	v_sub_f32_e32 v1, v24, v15
	v_add_f32_e32 v2, v23, v12
	v_sub_f32_e32 v3, v13, v18
	v_sub_f32_e32 v4, v7, v22
	v_add_f32_e32 v5, v21, v14
	v_add_f32_e32 v6, v22, v7
	v_sub_f32_e32 v7, v14, v21
	v_sub_f32_e32 v12, v12, v23
	v_add_f32_e32 v13, v18, v13
	v_sub_f32_e32 v14, v16, v19
	v_add_f32_e32 v15, v15, v24
	global_store_dwordx2 v[10:11], v[0:1], off
	global_store_dwordx2 v[29:30], v[2:3], off
	;; [unrolled: 1-line block ×6, first 2 shown]
.LBB0_20:
	s_endpgm
	.section	.rodata,"a",@progbits
	.p2align	6, 0x0
	.amdhsa_kernel fft_rtc_back_len1792_factors_4_4_4_4_7_wgs_224_tpt_224_halfLds_sp_op_CI_CI_sbrr_dirReg
		.amdhsa_group_segment_fixed_size 0
		.amdhsa_private_segment_fixed_size 0
		.amdhsa_kernarg_size 104
		.amdhsa_user_sgpr_count 6
		.amdhsa_user_sgpr_private_segment_buffer 1
		.amdhsa_user_sgpr_dispatch_ptr 0
		.amdhsa_user_sgpr_queue_ptr 0
		.amdhsa_user_sgpr_kernarg_segment_ptr 1
		.amdhsa_user_sgpr_dispatch_id 0
		.amdhsa_user_sgpr_flat_scratch_init 0
		.amdhsa_user_sgpr_private_segment_size 0
		.amdhsa_wavefront_size32 1
		.amdhsa_uses_dynamic_stack 0
		.amdhsa_system_sgpr_private_segment_wavefront_offset 0
		.amdhsa_system_sgpr_workgroup_id_x 1
		.amdhsa_system_sgpr_workgroup_id_y 0
		.amdhsa_system_sgpr_workgroup_id_z 0
		.amdhsa_system_sgpr_workgroup_info 0
		.amdhsa_system_vgpr_workitem_id 0
		.amdhsa_next_free_vgpr 70
		.amdhsa_next_free_sgpr 31
		.amdhsa_reserve_vcc 1
		.amdhsa_reserve_flat_scratch 0
		.amdhsa_float_round_mode_32 0
		.amdhsa_float_round_mode_16_64 0
		.amdhsa_float_denorm_mode_32 3
		.amdhsa_float_denorm_mode_16_64 3
		.amdhsa_dx10_clamp 1
		.amdhsa_ieee_mode 1
		.amdhsa_fp16_overflow 0
		.amdhsa_workgroup_processor_mode 1
		.amdhsa_memory_ordered 1
		.amdhsa_forward_progress 0
		.amdhsa_shared_vgpr_count 0
		.amdhsa_exception_fp_ieee_invalid_op 0
		.amdhsa_exception_fp_denorm_src 0
		.amdhsa_exception_fp_ieee_div_zero 0
		.amdhsa_exception_fp_ieee_overflow 0
		.amdhsa_exception_fp_ieee_underflow 0
		.amdhsa_exception_fp_ieee_inexact 0
		.amdhsa_exception_int_div_zero 0
	.end_amdhsa_kernel
	.text
.Lfunc_end0:
	.size	fft_rtc_back_len1792_factors_4_4_4_4_7_wgs_224_tpt_224_halfLds_sp_op_CI_CI_sbrr_dirReg, .Lfunc_end0-fft_rtc_back_len1792_factors_4_4_4_4_7_wgs_224_tpt_224_halfLds_sp_op_CI_CI_sbrr_dirReg
                                        ; -- End function
	.section	.AMDGPU.csdata,"",@progbits
; Kernel info:
; codeLenInByte = 6532
; NumSgprs: 33
; NumVgprs: 70
; ScratchSize: 0
; MemoryBound: 0
; FloatMode: 240
; IeeeMode: 1
; LDSByteSize: 0 bytes/workgroup (compile time only)
; SGPRBlocks: 4
; VGPRBlocks: 8
; NumSGPRsForWavesPerEU: 33
; NumVGPRsForWavesPerEU: 70
; Occupancy: 12
; WaveLimiterHint : 1
; COMPUTE_PGM_RSRC2:SCRATCH_EN: 0
; COMPUTE_PGM_RSRC2:USER_SGPR: 6
; COMPUTE_PGM_RSRC2:TRAP_HANDLER: 0
; COMPUTE_PGM_RSRC2:TGID_X_EN: 1
; COMPUTE_PGM_RSRC2:TGID_Y_EN: 0
; COMPUTE_PGM_RSRC2:TGID_Z_EN: 0
; COMPUTE_PGM_RSRC2:TIDIG_COMP_CNT: 0
	.text
	.p2alignl 6, 3214868480
	.fill 48, 4, 3214868480
	.type	__hip_cuid_67f6c41bf19c36a,@object ; @__hip_cuid_67f6c41bf19c36a
	.section	.bss,"aw",@nobits
	.globl	__hip_cuid_67f6c41bf19c36a
__hip_cuid_67f6c41bf19c36a:
	.byte	0                               ; 0x0
	.size	__hip_cuid_67f6c41bf19c36a, 1

	.ident	"AMD clang version 19.0.0git (https://github.com/RadeonOpenCompute/llvm-project roc-6.4.0 25133 c7fe45cf4b819c5991fe208aaa96edf142730f1d)"
	.section	".note.GNU-stack","",@progbits
	.addrsig
	.addrsig_sym __hip_cuid_67f6c41bf19c36a
	.amdgpu_metadata
---
amdhsa.kernels:
  - .args:
      - .actual_access:  read_only
        .address_space:  global
        .offset:         0
        .size:           8
        .value_kind:     global_buffer
      - .offset:         8
        .size:           8
        .value_kind:     by_value
      - .actual_access:  read_only
        .address_space:  global
        .offset:         16
        .size:           8
        .value_kind:     global_buffer
      - .actual_access:  read_only
        .address_space:  global
        .offset:         24
        .size:           8
        .value_kind:     global_buffer
      - .actual_access:  read_only
        .address_space:  global
        .offset:         32
        .size:           8
        .value_kind:     global_buffer
      - .offset:         40
        .size:           8
        .value_kind:     by_value
      - .actual_access:  read_only
        .address_space:  global
        .offset:         48
        .size:           8
        .value_kind:     global_buffer
      - .actual_access:  read_only
        .address_space:  global
        .offset:         56
        .size:           8
        .value_kind:     global_buffer
      - .offset:         64
        .size:           4
        .value_kind:     by_value
      - .actual_access:  read_only
        .address_space:  global
        .offset:         72
        .size:           8
        .value_kind:     global_buffer
      - .actual_access:  read_only
        .address_space:  global
        .offset:         80
        .size:           8
        .value_kind:     global_buffer
      - .actual_access:  read_only
        .address_space:  global
        .offset:         88
        .size:           8
        .value_kind:     global_buffer
      - .actual_access:  write_only
        .address_space:  global
        .offset:         96
        .size:           8
        .value_kind:     global_buffer
    .group_segment_fixed_size: 0
    .kernarg_segment_align: 8
    .kernarg_segment_size: 104
    .language:       OpenCL C
    .language_version:
      - 2
      - 0
    .max_flat_workgroup_size: 224
    .name:           fft_rtc_back_len1792_factors_4_4_4_4_7_wgs_224_tpt_224_halfLds_sp_op_CI_CI_sbrr_dirReg
    .private_segment_fixed_size: 0
    .sgpr_count:     33
    .sgpr_spill_count: 0
    .symbol:         fft_rtc_back_len1792_factors_4_4_4_4_7_wgs_224_tpt_224_halfLds_sp_op_CI_CI_sbrr_dirReg.kd
    .uniform_work_group_size: 1
    .uses_dynamic_stack: false
    .vgpr_count:     70
    .vgpr_spill_count: 0
    .wavefront_size: 32
    .workgroup_processor_mode: 1
amdhsa.target:   amdgcn-amd-amdhsa--gfx1030
amdhsa.version:
  - 1
  - 2
...

	.end_amdgpu_metadata
